;; amdgpu-corpus repo=ROCm/rocFFT kind=compiled arch=gfx1201 opt=O3
	.text
	.amdgcn_target "amdgcn-amd-amdhsa--gfx1201"
	.amdhsa_code_object_version 6
	.protected	fft_rtc_back_len121_factors_11_11_wgs_121_tpt_11_dp_op_CI_CI_sbrc_erc_z_xy_aligned_dirReg ; -- Begin function fft_rtc_back_len121_factors_11_11_wgs_121_tpt_11_dp_op_CI_CI_sbrc_erc_z_xy_aligned_dirReg
	.globl	fft_rtc_back_len121_factors_11_11_wgs_121_tpt_11_dp_op_CI_CI_sbrc_erc_z_xy_aligned_dirReg
	.p2align	8
	.type	fft_rtc_back_len121_factors_11_11_wgs_121_tpt_11_dp_op_CI_CI_sbrc_erc_z_xy_aligned_dirReg,@function
fft_rtc_back_len121_factors_11_11_wgs_121_tpt_11_dp_op_CI_CI_sbrc_erc_z_xy_aligned_dirReg: ; @fft_rtc_back_len121_factors_11_11_wgs_121_tpt_11_dp_op_CI_CI_sbrc_erc_z_xy_aligned_dirReg
; %bb.0:
	s_load_b256 s[4:11], s[0:1], 0x0
	v_mul_u32_u24_e32 v1, 0x21e, v0
	v_mul_u32_u24_e32 v47, 0x1746, v0
	s_mov_b32 s20, 0x43842ef
	s_mov_b32 s26, 0x640f44db
	s_mov_b32 s21, 0xbfefac9e
	v_lshrrev_b32_e32 v45, 16, v1
	v_lshrrev_b32_e32 v52, 16, v47
	s_mov_b32 s27, 0xbfc2375f
	s_mov_b32 s28, 0xbb3a28a1
	;; [unrolled: 1-line block ×3, first 2 shown]
	v_mul_lo_u16 v5, 0x79, v45
	s_mov_b32 s29, 0xbfe82f19
	s_mov_b32 s31, 0xbfe4f49e
	;; [unrolled: 1-line block ×4, first 2 shown]
	v_sub_nc_u16 v9, v0, v5
	s_mov_b32 s39, 0xbfd207e7
	s_mov_b32 s41, 0xbfeeb42a
	;; [unrolled: 1-line block ×3, first 2 shown]
	s_wait_kmcnt 0x0
	s_load_b128 s[16:19], s[8:9], 0x8
	s_load_b128 s[12:15], s[10:11], 0x0
	v_and_b32_e32 v46, 0xffff, v9
	s_mov_b32 s37, 0x3fed1bb4
	s_mov_b32 s43, 0x3fefac9e
	;; [unrolled: 1-line block ×7, first 2 shown]
	s_wait_kmcnt 0x0
	s_add_co_i32 s2, s16, -1
	v_mul_lo_u32 v49, s14, v45
	s_mul_hi_u32 s2, s2, 0xba2e8ba3
	v_mov_b32_e32 v50, 0
	s_lshr_b32 s3, s2, 3
	v_mad_co_u64_u32 v[11:12], null, s12, v46, 0
	s_add_co_i32 s2, s3, 1
	v_mul_u32_u24_e32 v45, 0x7a0, v45
	s_mul_i32 s8, s2, s18
	s_cvt_f32_u32 s15, s2
	s_cvt_f32_u32 s9, s8
	s_wait_alu 0xfffe
	s_delay_alu instid0(SALU_CYCLE_1) | instskip(NEXT) | instid1(SALU_CYCLE_1)
	v_rcp_iflag_f32_e32 v7, s15
	v_rcp_iflag_f32_e32 v1, s9
	s_sub_co_i32 s15, 0, s8
	s_delay_alu instid0(TRANS32_DEP_2) | instskip(NEXT) | instid1(TRANS32_DEP_1)
	v_readfirstlane_b32 s16, v7
	v_readfirstlane_b32 s9, v1
	v_lshlrev_b64_e32 v[1:2], 4, v[49:50]
	v_add_nc_u32_e32 v49, s14, v49
	s_delay_alu instid0(VALU_DEP_4) | instskip(NEXT) | instid1(VALU_DEP_3)
	s_mul_f32 s16, s16, 0x4f7ffffe
	s_mul_f32 s9, s9, 0x4f7ffffe
	s_delay_alu instid0(VALU_DEP_1) | instskip(SKIP_3) | instid1(VALU_DEP_1)
	v_lshlrev_b64_e32 v[3:4], 4, v[49:50]
	v_add_nc_u32_e32 v49, s14, v49
	s_wait_alu 0xfffe
	s_cvt_u32_f32 s9, s9
	v_lshlrev_b64_e32 v[5:6], 4, v[49:50]
	s_wait_alu 0xfffe
	s_delay_alu instid0(SALU_CYCLE_1)
	s_mul_i32 s15, s15, s9
	v_add_nc_u32_e32 v49, s14, v49
	s_wait_alu 0xfffe
	s_mul_hi_u32 s15, s9, s15
	s_wait_alu 0xfffe
	s_add_co_i32 s9, s9, s15
	s_load_b32 s15, s[10:11], 0x10
	s_mul_hi_u32 s9, ttmp9, s9
	v_lshlrev_b64_e32 v[7:8], 4, v[49:50]
	s_wait_alu 0xfffe
	s_mul_i32 s17, s9, s8
	s_add_co_i32 s18, s9, 1
	s_sub_co_i32 s17, ttmp9, s17
	v_add_nc_u32_e32 v49, s14, v49
	s_sub_co_i32 s19, s17, s8
	s_cmp_ge_u32 s17, s8
	s_cselect_b32 s9, s18, s9
	s_cselect_b32 s17, s19, s17
	s_wait_alu 0xfffe
	s_add_co_i32 s18, s9, 1
	s_cmp_ge_u32 s17, s8
	s_cvt_u32_f32 s17, s16
	s_cselect_b32 s16, s18, s9
	s_not_b32 s3, s3
	s_mul_i32 s8, s16, s8
	s_mul_i32 s3, s3, s17
	s_wait_alu 0xfffe
	s_sub_co_i32 s8, ttmp9, s8
	s_mul_hi_u32 s3, s17, s3
	v_lshlrev_b64_e32 v[9:10], 4, v[49:50]
	s_add_co_i32 s17, s17, s3
	v_add_nc_u32_e32 v49, s14, v49
	s_wait_alu 0xfffe
	s_mul_hi_u32 s3, s8, s17
	s_mul_hi_u32 s17, ttmp9, s17
	s_mul_i32 s9, s3, s2
	s_mul_i32 s17, s17, s2
	s_wait_alu 0xfffe
	s_sub_co_i32 s8, s8, s9
	s_add_co_i32 s9, s3, 1
	s_wait_alu 0xfffe
	s_sub_co_i32 s18, s8, s2
	s_cmp_ge_u32 s8, s2
	v_lshlrev_b64_e32 v[13:14], 4, v[49:50]
	s_cselect_b32 s3, s9, s3
	s_cselect_b32 s8, s18, s8
	s_add_co_i32 s9, s3, 1
	s_wait_alu 0xfffe
	s_cmp_ge_u32 s8, s2
	v_add_nc_u32_e32 v49, s14, v49
	s_cselect_b32 s33, s9, s3
	s_sub_co_i32 s3, ttmp9, s17
	v_mad_co_u64_u32 v[17:18], null, s13, v46, v[12:13]
	s_sub_co_i32 s8, s3, s2
	s_cmp_ge_u32 s3, s2
	s_mov_b32 s13, 0
	s_wait_alu 0xfffe
	s_cselect_b32 s3, s8, s3
	s_mov_b32 s17, s13
	s_sub_co_i32 s8, s3, s2
	s_cmp_ge_u32 s3, s2
	v_mov_b32_e32 v12, v17
	s_wait_alu 0xfffe
	s_cselect_b32 s12, s8, s3
	s_lshl_b64 s[6:7], s[6:7], 3
	s_wait_alu 0xfffe
	s_mul_i32 s22, s12, 11
	s_add_nc_u64 s[2:3], s[10:11], s[6:7]
	s_load_b64 s[18:19], s[0:1], 0x20
	s_load_b64 s[2:3], s[2:3], 0x0
	s_load_b128 s[8:11], s[0:1], 0x58
	s_wait_kmcnt 0x0
	s_mul_i32 s12, s33, s15
	s_mul_i32 s15, s22, s14
	v_lshlrev_b64_e32 v[11:12], 4, v[11:12]
	s_wait_alu 0xfffe
	s_add_co_i32 s12, s15, s12
	v_lshlrev_b64_e32 v[15:16], 4, v[49:50]
	v_add_nc_u32_e32 v49, s14, v49
	v_add_nc_u32_e32 v47, s22, v52
	v_lshlrev_b32_e32 v46, 4, v46
	s_mov_b32 s23, s13
	s_delay_alu instid0(VALU_DEP_3) | instskip(SKIP_3) | instid1(VALU_DEP_3)
	v_lshlrev_b64_e32 v[18:19], 4, v[49:50]
	v_add_nc_u32_e32 v49, s14, v49
	v_mul_hi_u32 v48, 0xba2e8ba3, v47
	v_add3_u32 v46, 0, v45, v46
	v_lshlrev_b64_e32 v[20:21], 4, v[49:50]
	v_add_nc_u32_e32 v49, s14, v49
	s_mul_u64 s[0:1], s[2:3], s[16:17]
	s_wait_alu 0xfffe
	s_lshl_b64 s[2:3], s[12:13], 4
	s_lshl_b64 s[0:1], s[0:1], 4
	v_lshrrev_b32_e32 v48, 3, v48
	s_add_nc_u64 s[0:1], s[8:9], s[0:1]
	v_lshlrev_b64_e32 v[22:23], 4, v[49:50]
	s_add_nc_u64 s[0:1], s[0:1], s[2:3]
	v_add_nc_u32_e32 v49, s14, v49
	v_add_co_u32 v17, vcc_lo, s0, v11
	v_add_co_ci_u32_e32 v43, vcc_lo, s1, v12, vcc_lo
	s_delay_alu instid0(VALU_DEP_3) | instskip(NEXT) | instid1(VALU_DEP_3)
	v_lshlrev_b64_e32 v[11:12], 4, v[49:50]
	v_add_co_u32 v1, vcc_lo, v17, v1
	s_wait_alu 0xfffd
	s_delay_alu instid0(VALU_DEP_3)
	v_add_co_ci_u32_e32 v2, vcc_lo, v43, v2, vcc_lo
	v_add_co_u32 v24, vcc_lo, v17, v3
	s_wait_alu 0xfffd
	v_add_co_ci_u32_e32 v25, vcc_lo, v43, v4, vcc_lo
	v_add_co_u32 v26, vcc_lo, v17, v5
	s_wait_alu 0xfffd
	;; [unrolled: 3-line block ×10, first 2 shown]
	v_add_co_ci_u32_e32 v43, vcc_lo, v43, v12, vcc_lo
	s_clause 0xa
	global_load_b128 v[1:4], v[1:2], off
	global_load_b128 v[5:8], v[24:25], off
	;; [unrolled: 1-line block ×11, first 2 shown]
	v_mul_lo_u32 v48, v48, 11
	v_mul_lo_u16 v49, v52, 11
	s_add_nc_u64 s[6:7], s[18:19], s[6:7]
	s_clause 0x1
	s_load_b128 s[0:3], s[18:19], 0x0
	s_load_b64 s[24:25], s[6:7], 0x0
	s_wait_kmcnt 0x0
	s_load_b32 s3, s[18:19], 0x10
	v_sub_nc_u16 v49, v0, v49
	v_add_nc_u32_e32 v54, 0x2800, v46
	v_sub_nc_u32_e32 v45, v47, v48
	v_add_nc_u32_e32 v48, 0x1800, v46
	v_add_nc_u32_e32 v55, 0x3000, v46
	v_and_b32_e32 v53, 0xffff, v49
	v_add_nc_u32_e32 v49, 0x2000, v46
	v_mul_u32_u24_e32 v45, 0x7a, v45
	v_add_nc_u32_e32 v56, 0x3800, v46
	v_add_nc_u32_e32 v57, 0x4000, v46
	v_lshlrev_b32_e32 v47, 4, v53
	v_add_nc_u32_e32 v58, 0x4800, v46
	v_lshlrev_b32_e32 v51, 4, v45
	s_mov_b32 s6, 0xf8bb580b
	s_mov_b32 s8, 0x8764f0ba
	;; [unrolled: 1-line block ×4, first 2 shown]
	v_add3_u32 v45, 0, v51, v47
	v_add3_u32 v51, 0, v47, v51
	s_mov_b32 s7, 0xbfe14ced
	s_mov_b32 s9, 0x3feaeb8c
	;; [unrolled: 1-line block ×5, first 2 shown]
	s_wait_alu 0xfffe
	s_mov_b32 s36, s14
	v_cmp_gt_u32_e32 vcc_lo, 11, v0
	s_mul_i32 s2, s33, s2
	s_wait_loadcnt 0xa
	ds_store_b128 v46, v[1:4]
	s_wait_loadcnt 0x9
	ds_store_b128 v46, v[5:8] offset:1952
	s_wait_loadcnt 0x8
	ds_store_b128 v46, v[9:12] offset:3904
	;; [unrolled: 2-line block ×3, first 2 shown]
	s_wait_loadcnt 0x6
	ds_store_2addr_b64 v48, v[17:18], v[19:20] offset0:208 offset1:209
	s_wait_loadcnt 0x5
	ds_store_2addr_b64 v49, v[21:22], v[23:24] offset0:196 offset1:197
	;; [unrolled: 2-line block ×7, first 2 shown]
	global_wb scope:SCOPE_SE
	s_wait_dscnt 0x0
	s_wait_kmcnt 0x0
	s_barrier_signal -1
	s_barrier_wait -1
	global_inv scope:SCOPE_SE
	ds_load_b128 v[5:8], v45
	ds_load_b128 v[21:24], v51 offset:176
	ds_load_b128 v[1:4], v51 offset:1760
	;; [unrolled: 1-line block ×10, first 2 shown]
	global_wb scope:SCOPE_SE
	s_wait_dscnt 0x0
	s_barrier_signal -1
	s_barrier_wait -1
	global_inv scope:SCOPE_SE
	v_add_f64_e32 v[46:47], v[5:6], v[21:22]
	v_add_f64_e32 v[48:49], v[7:8], v[23:24]
	v_add_f64_e64 v[58:59], v[27:28], -v[11:12]
	v_add_f64_e32 v[60:61], v[27:28], v[11:12]
	v_add_f64_e64 v[54:55], v[23:24], -v[3:4]
	v_add_f64_e32 v[56:57], v[23:24], v[3:4]
	v_add_f64_e32 v[80:81], v[29:30], v[13:14]
	v_add_f64_e64 v[82:83], v[29:30], -v[13:14]
	v_add_f64_e64 v[66:67], v[21:22], -v[1:2]
	;; [unrolled: 1-line block ×3, first 2 shown]
	v_add_f64_e32 v[64:65], v[31:32], v[15:16]
	v_add_f64_e32 v[68:69], v[33:34], v[17:18]
	;; [unrolled: 1-line block ×3, first 2 shown]
	v_add_f64_e64 v[72:73], v[33:34], -v[17:18]
	v_add_f64_e64 v[74:75], v[35:36], -v[19:20]
	v_add_f64_e32 v[84:85], v[25:26], v[9:10]
	v_add_f64_e32 v[76:77], v[39:40], v[43:44]
	v_add_f64_e64 v[78:79], v[39:40], -v[43:44]
	v_add_f64_e32 v[23:24], v[37:38], v[41:42]
	v_add_f64_e32 v[46:47], v[46:47], v[25:26]
	;; [unrolled: 1-line block ×4, first 2 shown]
	v_add_f64_e64 v[25:26], v[25:26], -v[9:10]
	v_mul_f64_e32 v[86:87], s[6:7], v[54:55]
	v_mul_f64_e32 v[88:89], s[8:9], v[56:57]
	;; [unrolled: 1-line block ×26, first 2 shown]
	v_add_f64_e64 v[21:22], v[37:38], -v[41:42]
	v_mul_f64_e32 v[64:65], s[30:31], v[64:65]
	v_mul_f64_e32 v[130:131], s[28:29], v[74:75]
	v_mul_f64_e32 v[132:133], s[42:43], v[74:75]
	v_mul_f64_e32 v[134:135], s[6:7], v[74:75]
	v_mul_f64_e32 v[136:137], s[38:39], v[74:75]
	v_mul_f64_e32 v[74:75], s[36:37], v[74:75]
	v_mul_f64_e32 v[138:139], s[30:31], v[70:71]
	v_add_f64_e32 v[29:30], v[46:47], v[29:30]
	v_add_f64_e32 v[27:28], v[27:28], v[31:32]
	v_mul_f64_e32 v[31:32], s[28:29], v[58:59]
	v_mul_f64_e32 v[46:47], s[46:47], v[58:59]
	;; [unrolled: 1-line block ×4, first 2 shown]
	v_fma_f64 v[162:163], v[48:49], s[18:19], v[90:91]
	v_fma_f64 v[164:165], v[66:67], s[36:37], v[92:93]
	v_fma_f64 v[90:91], v[48:49], s[18:19], -v[90:91]
	v_fma_f64 v[166:167], v[48:49], s[26:27], v[94:95]
	v_fma_f64 v[168:169], v[66:67], s[42:43], v[96:97]
	v_fma_f64 v[94:95], v[48:49], s[26:27], -v[94:95]
	;; [unrolled: 3-line block ×3, first 2 shown]
	v_fma_f64 v[174:175], v[48:49], s[40:41], v[54:55]
	v_fma_f64 v[176:177], v[66:67], s[46:47], v[56:57]
	;; [unrolled: 1-line block ×6, first 2 shown]
	v_fma_f64 v[110:111], v[84:85], s[26:27], -v[110:111]
	v_fma_f64 v[188:189], v[25:26], s[38:39], v[114:115]
	v_fma_f64 v[178:179], v[80:81], s[26:27], -v[106:107]
	v_fma_f64 v[190:191], v[80:81], s[18:19], v[120:121]
	;; [unrolled: 2-line block ×4, first 2 shown]
	v_fma_f64 v[62:63], v[80:81], s[30:31], -v[62:63]
	v_mul_f64_e32 v[142:143], s[8:9], v[70:71]
	v_mul_f64_e32 v[144:145], s[40:41], v[70:71]
	;; [unrolled: 1-line block ×8, first 2 shown]
	v_add_f64_e32 v[29:30], v[29:30], v[33:34]
	v_add_f64_e32 v[27:28], v[27:28], v[35:36]
	v_fma_f64 v[33:34], v[48:49], s[8:9], v[86:87]
	v_fma_f64 v[35:36], v[66:67], s[34:35], v[88:89]
	v_fma_f64 v[86:87], v[48:49], s[8:9], -v[86:87]
	v_fma_f64 v[88:89], v[66:67], s[6:7], v[88:89]
	v_fma_f64 v[48:49], v[48:49], s[40:41], -v[54:55]
	;; [unrolled: 2-line block ×3, first 2 shown]
	v_fma_f64 v[66:67], v[25:26], s[14:15], v[104:105]
	v_fma_f64 v[102:103], v[84:85], s[18:19], v[102:103]
	;; [unrolled: 1-line block ×3, first 2 shown]
	v_fma_f64 v[31:32], v[84:85], s[30:31], -v[31:32]
	v_fma_f64 v[182:183], v[84:85], s[40:41], v[46:47]
	v_fma_f64 v[46:47], v[84:85], s[40:41], -v[46:47]
	v_fma_f64 v[186:187], v[84:85], s[8:9], v[58:59]
	;; [unrolled: 2-line block ×3, first 2 shown]
	v_fma_f64 v[104:105], v[25:26], s[44:45], v[112:113]
	v_add_f64_e32 v[162:163], v[5:6], v[162:163]
	v_add_f64_e32 v[164:165], v[7:8], v[164:165]
	;; [unrolled: 1-line block ×11, first 2 shown]
	v_fma_f64 v[112:113], v[25:26], s[28:29], v[112:113]
	v_add_f64_e32 v[96:97], v[7:8], v[96:97]
	v_add_f64_e32 v[92:93], v[7:8], v[92:93]
	v_mul_f64_e32 v[78:79], s[20:21], v[78:79]
	v_mul_f64_e32 v[156:157], s[30:31], v[76:77]
	v_mul_f64_e32 v[158:159], s[18:19], v[76:77]
	v_mul_f64_e32 v[160:161], s[26:27], v[76:77]
	v_mul_f64_e32 v[76:77], s[8:9], v[76:77]
	v_add_f64_e32 v[29:30], v[29:30], v[37:38]
	v_add_f64_e32 v[27:28], v[27:28], v[39:40]
	;; [unrolled: 1-line block ×3, first 2 shown]
	v_fma_f64 v[39:40], v[25:26], s[20:21], v[116:117]
	v_add_f64_e32 v[86:87], v[5:6], v[86:87]
	v_add_f64_e32 v[88:89], v[7:8], v[88:89]
	v_fma_f64 v[37:38], v[25:26], s[46:47], v[114:115]
	v_fma_f64 v[114:115], v[25:26], s[42:43], v[116:117]
	;; [unrolled: 1-line block ×4, first 2 shown]
	v_add_f64_e32 v[5:6], v[5:6], v[48:49]
	v_add_f64_e32 v[48:49], v[7:8], v[54:55]
	;; [unrolled: 1-line block ×4, first 2 shown]
	v_fma_f64 v[60:61], v[80:81], s[26:27], v[106:107]
	v_fma_f64 v[106:107], v[80:81], s[40:41], v[118:119]
	v_fma_f64 v[118:119], v[80:81], s[40:41], -v[118:119]
	v_fma_f64 v[80:81], v[82:83], s[20:21], v[108:109]
	v_fma_f64 v[35:36], v[82:83], s[38:39], v[124:125]
	v_fma_f64 v[100:101], v[82:83], s[36:37], v[126:127]
	v_fma_f64 v[108:109], v[82:83], s[42:43], v[108:109]
	v_add_f64_e32 v[31:32], v[31:32], v[90:91]
	v_add_f64_e32 v[90:91], v[182:183], v[166:167]
	v_fma_f64 v[196:197], v[68:69], s[26:27], v[132:133]
	v_add_f64_e32 v[46:47], v[46:47], v[94:95]
	v_add_f64_e32 v[94:95], v[184:185], v[170:171]
	v_fma_f64 v[198:199], v[68:69], s[8:9], v[134:135]
	v_add_f64_e32 v[98:99], v[110:111], v[98:99]
	v_fma_f64 v[132:133], v[68:69], s[26:27], -v[132:133]
	v_fma_f64 v[200:201], v[68:69], s[40:41], v[136:137]
	v_fma_f64 v[136:137], v[68:69], s[40:41], -v[136:137]
	v_fma_f64 v[134:135], v[68:69], s[8:9], -v[134:135]
	v_add_f64_e32 v[29:30], v[29:30], v[41:42]
	v_add_f64_e32 v[27:28], v[27:28], v[43:44]
	;; [unrolled: 1-line block ×3, first 2 shown]
	v_fma_f64 v[43:44], v[82:83], s[14:15], v[126:127]
	v_add_f64_e32 v[56:57], v[56:57], v[86:87]
	v_add_f64_e32 v[66:67], v[66:67], v[88:89]
	;; [unrolled: 1-line block ×5, first 2 shown]
	v_fma_f64 v[41:42], v[82:83], s[46:47], v[124:125]
	v_fma_f64 v[124:125], v[82:83], s[34:35], v[128:129]
	v_add_f64_e32 v[39:40], v[39:40], v[172:173]
	v_fma_f64 v[126:127], v[82:83], s[6:7], v[128:129]
	v_fma_f64 v[128:129], v[82:83], s[44:45], v[64:65]
	v_add_f64_e32 v[104:105], v[186:187], v[174:175]
	v_add_f64_e32 v[110:111], v[116:117], v[176:177]
	v_fma_f64 v[64:65], v[82:83], s[28:29], v[64:65]
	v_add_f64_e32 v[5:6], v[58:59], v[5:6]
	v_add_f64_e32 v[25:26], v[25:26], v[48:49]
	;; [unrolled: 1-line block ×6, first 2 shown]
	v_fma_f64 v[82:83], v[68:69], s[30:31], -v[130:131]
	v_fma_f64 v[58:59], v[72:73], s[28:29], v[138:139]
	v_fma_f64 v[92:93], v[72:73], s[34:35], v[142:143]
	;; [unrolled: 1-line block ×3, first 2 shown]
	v_add_f64_e32 v[31:32], v[118:119], v[31:32]
	v_fma_f64 v[116:117], v[72:73], s[14:15], v[70:71]
	v_fma_f64 v[70:71], v[72:73], s[36:37], v[70:71]
	;; [unrolled: 1-line block ×5, first 2 shown]
	v_add_f64_e32 v[46:47], v[120:121], v[46:47]
	v_fma_f64 v[84:85], v[72:73], s[42:43], v[140:141]
	v_fma_f64 v[142:143], v[23:24], s[8:9], v[150:151]
	;; [unrolled: 1-line block ×3, first 2 shown]
	v_add_f64_e32 v[17:18], v[29:30], v[17:18]
	v_add_f64_e32 v[19:20], v[27:28], v[19:20]
	v_fma_f64 v[27:28], v[68:69], s[18:19], v[74:75]
	v_fma_f64 v[29:30], v[68:69], s[18:19], -v[74:75]
	v_fma_f64 v[74:75], v[72:73], s[20:21], v[140:141]
	v_add_f64_e32 v[56:57], v[178:179], v[56:57]
	v_add_f64_e32 v[66:67], v[80:81], v[66:67]
	;; [unrolled: 1-line block ×17, first 2 shown]
	v_fma_f64 v[68:69], v[72:73], s[44:45], v[138:139]
	v_add_f64_e32 v[7:8], v[108:109], v[7:8]
	v_fma_f64 v[72:73], v[23:24], s[40:41], -v[146:147]
	v_fma_f64 v[138:139], v[21:22], s[38:39], v[148:149]
	v_fma_f64 v[140:141], v[23:24], s[40:41], v[146:147]
	v_fma_f64 v[54:55], v[23:24], s[30:31], -v[152:153]
	v_fma_f64 v[62:63], v[23:24], s[18:19], v[154:155]
	v_fma_f64 v[64:65], v[23:24], s[18:19], -v[154:155]
	;; [unrolled: 2-line block ×3, first 2 shown]
	v_fma_f64 v[100:101], v[21:22], s[28:29], v[156:157]
	v_fma_f64 v[102:103], v[21:22], s[14:15], v[158:159]
	;; [unrolled: 1-line block ×6, first 2 shown]
	v_add_f64_e32 v[13:14], v[17:18], v[13:14]
	v_add_f64_e32 v[15:16], v[19:20], v[15:16]
	v_fma_f64 v[17:18], v[23:24], s[8:9], -v[150:151]
	v_fma_f64 v[19:20], v[23:24], s[30:31], v[152:153]
	v_fma_f64 v[23:24], v[21:22], s[44:45], v[156:157]
	;; [unrolled: 1-line block ×3, first 2 shown]
	v_add_f64_e32 v[21:22], v[82:83], v[56:57]
	v_add_f64_e32 v[56:57], v[58:59], v[66:67]
	;; [unrolled: 1-line block ×42, first 2 shown]
	v_mul_u32_u24_e32 v46, 10, v53
	v_mad_u32_u24 v47, 0xa0, v53, v51
	v_mul_lo_u32 v49, s3, v52
	s_delay_alu instid0(VALU_DEP_3)
	v_lshlrev_b32_e32 v46, 4, v46
	v_add_f64_e32 v[1:2], v[88:89], v[1:2]
	v_add_f64_e32 v[3:4], v[90:91], v[3:4]
	ds_store_b128 v47, v[13:16] offset:32
	ds_store_b128 v47, v[21:24] offset:48
	;; [unrolled: 1-line block ×10, first 2 shown]
	ds_store_b128 v47, v[1:4]
	global_wb scope:SCOPE_SE
	s_wait_dscnt 0x0
	s_barrier_signal -1
	s_barrier_wait -1
	global_inv scope:SCOPE_SE
	s_clause 0x9
	global_load_b128 v[1:4], v46, s[4:5]
	global_load_b128 v[5:8], v46, s[4:5] offset:144
	global_load_b128 v[37:40], v46, s[4:5] offset:16
	;; [unrolled: 1-line block ×9, first 2 shown]
	ds_load_b128 v[41:44], v51 offset:176
	ds_load_b128 v[45:48], v45
	ds_load_b128 v[54:57], v51 offset:1760
	ds_load_b128 v[58:61], v51 offset:352
	;; [unrolled: 1-line block ×8, first 2 shown]
	s_mul_i32 s4, s3, 11
	s_mov_b32 s3, s13
	s_wait_alu 0xfffe
	s_lshl_b64 s[2:3], s[2:3], 4
	s_wait_loadcnt_dscnt 0x909
	v_mul_f64_e32 v[86:87], v[43:44], v[3:4]
	v_mul_f64_e32 v[3:4], v[41:42], v[3:4]
	s_wait_loadcnt_dscnt 0x807
	v_mul_f64_e32 v[90:91], v[54:55], v[7:8]
	s_wait_loadcnt_dscnt 0x706
	;; [unrolled: 2-line block ×3, first 2 shown]
	v_mul_f64_e32 v[94:95], v[62:63], v[35:36]
	v_mul_f64_e32 v[100:101], v[60:61], v[39:40]
	s_wait_loadcnt_dscnt 0x403
	v_mul_f64_e32 v[98:99], v[70:71], v[27:28]
	v_mul_f64_e32 v[96:97], v[66:67], v[23:24]
	;; [unrolled: 1-line block ×6, first 2 shown]
	s_wait_loadcnt_dscnt 0x302
	v_mul_f64_e32 v[104:105], v[76:77], v[19:20]
	v_mul_f64_e32 v[19:20], v[74:75], v[19:20]
	s_wait_loadcnt_dscnt 0x200
	v_mul_f64_e32 v[106:107], v[82:83], v[31:32]
	v_mul_f64_e32 v[31:32], v[84:85], v[31:32]
	s_wait_loadcnt 0x1
	v_mul_f64_e32 v[108:109], v[80:81], v[15:16]
	v_mul_f64_e32 v[15:16], v[78:79], v[15:16]
	v_lshlrev_b64_e32 v[39:40], 4, v[49:50]
	v_add_nc_u32_e32 v49, s4, v49
	v_fma_f64 v[102:103], v[41:42], v[1:2], v[86:87]
	v_fma_f64 v[43:44], v[43:44], v[1:2], -v[3:4]
	ds_load_b128 v[86:89], v51 offset:1056
	v_fma_f64 v[3:4], v[56:57], v[5:6], -v[90:91]
	v_fma_f64 v[60:61], v[60:61], v[37:38], -v[92:93]
	;; [unrolled: 1-line block ×3, first 2 shown]
	v_fma_f64 v[37:38], v[58:59], v[37:38], v[100:101]
	v_mad_co_u64_u32 v[56:57], null, s0, v53, 0
	v_lshlrev_b64_e32 v[41:42], 4, v[49:50]
	v_add_nc_u32_e32 v49, s4, v49
	v_fma_f64 v[72:73], v[72:73], v[25:26], -v[98:99]
	v_mul_u32_u24_e32 v98, 0x7a0, v53
	v_fma_f64 v[68:69], v[68:69], v[21:22], -v[96:97]
	global_wb scope:SCOPE_SE
	s_wait_loadcnt_dscnt 0x0
	v_lshlrev_b64_e32 v[1:2], 4, v[49:50]
	v_dual_mov_b32 v0, v57 :: v_dual_lshlrev_b32 v57, 4, v52
	v_add_nc_u32_e32 v49, s4, v49
	s_barrier_signal -1
	s_barrier_wait -1
	s_delay_alu instid0(VALU_DEP_2)
	v_mad_co_u64_u32 v[52:53], null, s1, v53, v[0:1]
	v_mul_f64_e32 v[110:111], v[88:89], v[11:12]
	v_mul_f64_e32 v[11:12], v[86:87], v[11:12]
	v_fma_f64 v[53:54], v[54:55], v[5:6], v[7:8]
	v_fma_f64 v[5:6], v[62:63], v[33:34], v[35:36]
	;; [unrolled: 1-line block ×5, first 2 shown]
	v_fma_f64 v[17:18], v[76:77], v[17:18], -v[19:20]
	v_fma_f64 v[19:20], v[84:85], v[29:30], -v[106:107]
	v_fma_f64 v[25:26], v[82:83], v[29:30], v[31:32]
	v_fma_f64 v[27:28], v[78:79], v[13:14], v[108:109]
	v_fma_f64 v[13:14], v[80:81], v[13:14], -v[15:16]
	v_add3_u32 v0, 0, v98, v57
	v_mov_b32_e32 v57, v52
	s_mul_u64 s[0:1], s[0:1], s[22:23]
	v_add_f64_e32 v[58:59], v[45:46], v[102:103]
	v_add_f64_e32 v[92:93], v[47:48], v[43:44]
	s_wait_alu 0xfffe
	s_lshl_b64 s[0:1], s[0:1], 4
	v_add_f64_e32 v[15:16], v[43:44], v[3:4]
	v_lshlrev_b64_e32 v[55:56], 4, v[56:57]
	v_add_f64_e64 v[31:32], v[60:61], -v[64:65]
	v_add_f64_e32 v[33:34], v[60:61], v[64:65]
	s_wait_alu 0xfffe
	s_add_nc_u64 s[0:1], s[10:11], s[0:1]
	v_lshlrev_b64_e32 v[90:91], 4, v[49:50]
	s_wait_alu 0xfffe
	s_add_nc_u64 s[0:1], s[0:1], s[2:3]
	s_mul_u64 s[2:3], s[24:25], s[16:17]
	v_add_nc_u32_e32 v49, s4, v49
	s_wait_alu 0xfffe
	s_lshl_b64 s[2:3], s[2:3], 4
	v_add_f64_e64 v[35:36], v[68:69], -v[72:73]
	s_wait_alu 0xfffe
	s_add_nc_u64 s[0:1], s[0:1], s[2:3]
	global_inv scope:SCOPE_SE
	v_lshlrev_b64_e32 v[94:95], 4, v[49:50]
	v_add_nc_u32_e32 v49, s4, v49
	s_delay_alu instid0(VALU_DEP_1)
	v_lshlrev_b64_e32 v[96:97], 4, v[49:50]
	v_fma_f64 v[29:30], v[86:87], v[9:10], v[110:111]
	v_fma_f64 v[9:10], v[88:89], v[9:10], -v[11:12]
	v_add_f64_e64 v[11:12], v[43:44], -v[3:4]
	v_add_f64_e32 v[76:77], v[102:103], v[53:54]
	v_add_f64_e64 v[78:79], v[102:103], -v[53:54]
	v_add_f64_e32 v[82:83], v[7:8], v[21:22]
	;; [unrolled: 2-line block ×4, first 2 shown]
	v_add_f64_e32 v[88:89], v[23:24], v[25:26]
	v_add_nc_u32_e32 v49, s4, v49
	v_add_f64_e32 v[43:44], v[58:59], v[37:38]
	v_add_f64_e32 v[60:61], v[92:93], v[60:61]
	;; [unrolled: 1-line block ×3, first 2 shown]
	v_mul_f64_e32 v[110:111], s[8:9], v[15:16]
	v_mul_f64_e32 v[114:115], s[18:19], v[15:16]
	;; [unrolled: 1-line block ×5, first 2 shown]
	v_add_f64_e64 v[37:38], v[37:38], -v[5:6]
	v_add_f64_e64 v[92:93], v[23:24], -v[25:26]
	v_mul_f64_e32 v[126:127], s[18:19], v[33:34]
	v_mul_f64_e32 v[130:131], s[30:31], v[33:34]
	v_mul_f64_e32 v[124:125], s[14:15], v[31:32]
	v_mul_f64_e32 v[136:137], s[46:47], v[31:32]
	v_mul_f64_e32 v[138:139], s[40:41], v[33:34]
	v_mul_f64_e32 v[144:145], s[42:43], v[31:32]
	v_mul_f64_e32 v[146:147], s[26:27], v[33:34]
	v_mul_f64_e32 v[33:34], s[8:9], v[33:34]
	v_mul_f64_e32 v[128:129], s[20:21], v[35:36]
	v_mul_f64_e32 v[132:133], s[46:47], v[35:36]
	v_mul_f64_e32 v[140:141], s[36:37], v[35:36]
	v_mul_f64_e32 v[148:149], s[6:7], v[35:36]
	v_mul_f64_e32 v[35:36], s[28:29], v[35:36]
	v_add_f64_e32 v[100:101], v[27:28], v[29:30]
	v_add_f64_e64 v[104:105], v[13:14], -v[9:10]
	v_mul_f64_e32 v[112:113], s[14:15], v[11:12]
	v_mul_f64_e32 v[108:109], s[6:7], v[11:12]
	;; [unrolled: 1-line block ×5, first 2 shown]
	v_add_f64_e32 v[106:107], v[13:14], v[9:10]
	v_add_f64_e64 v[102:103], v[27:28], -v[29:30]
	v_mul_f64_e32 v[154:155], s[42:43], v[86:87]
	v_mul_f64_e32 v[162:163], s[26:27], v[98:99]
	;; [unrolled: 1-line block ×6, first 2 shown]
	v_add_f64_e32 v[7:8], v[43:44], v[7:8]
	v_add_f64_e32 v[60:61], v[60:61], v[68:69]
	v_mul_f64_e32 v[43:44], s[26:27], v[58:59]
	v_mul_f64_e32 v[68:69], s[28:29], v[31:32]
	;; [unrolled: 1-line block ×6, first 2 shown]
	v_fma_f64 v[182:183], v[78:79], s[34:35], v[110:111]
	v_mul_f64_e32 v[31:32], s[34:35], v[31:32]
	v_fma_f64 v[186:187], v[78:79], s[42:43], v[118:119]
	v_fma_f64 v[190:191], v[78:79], s[44:45], v[122:123]
	;; [unrolled: 1-line block ×10, first 2 shown]
	v_fma_f64 v[136:137], v[80:81], s[40:41], -v[136:137]
	v_fma_f64 v[144:145], v[80:81], s[26:27], -v[144:145]
	v_fma_f64 v[196:197], v[82:83], s[26:27], v[128:129]
	v_fma_f64 v[128:129], v[82:83], s[26:27], -v[128:129]
	v_fma_f64 v[202:203], v[82:83], s[40:41], v[132:133]
	v_fma_f64 v[208:209], v[82:83], s[18:19], v[140:141]
	;; [unrolled: 1-line block ×6, first 2 shown]
	v_fma_f64 v[116:117], v[76:77], s[26:27], -v[116:117]
	v_fma_f64 v[11:12], v[76:77], s[40:41], -v[11:12]
	;; [unrolled: 1-line block ×6, first 2 shown]
	v_mul_f64_e32 v[160:161], s[30:31], v[98:99]
	v_mul_f64_e32 v[164:165], s[8:9], v[98:99]
	v_add_f64_e32 v[7:8], v[7:8], v[23:24]
	v_add_f64_e32 v[17:18], v[60:61], v[17:18]
	v_fma_f64 v[23:24], v[78:79], s[6:7], v[110:111]
	v_fma_f64 v[59:60], v[76:77], s[18:19], v[112:113]
	;; [unrolled: 1-line block ×3, first 2 shown]
	v_fma_f64 v[112:113], v[76:77], s[18:19], -v[112:113]
	v_fma_f64 v[114:115], v[78:79], s[14:15], v[114:115]
	v_fma_f64 v[78:79], v[37:38], s[36:37], v[126:127]
	;; [unrolled: 1-line block ×5, first 2 shown]
	v_fma_f64 v[124:125], v[80:81], s[18:19], -v[124:125]
	v_fma_f64 v[68:69], v[80:81], s[30:31], -v[68:69]
	v_fma_f64 v[212:213], v[80:81], s[8:9], v[31:32]
	v_fma_f64 v[31:32], v[80:81], s[8:9], -v[31:32]
	v_fma_f64 v[80:81], v[37:38], s[20:21], v[146:147]
	v_add_f64_e32 v[186:187], v[47:48], v[186:187]
	v_add_f64_e32 v[190:191], v[47:48], v[190:191]
	;; [unrolled: 1-line block ×6, first 2 shown]
	v_mul_f64_e32 v[166:167], s[40:41], v[98:99]
	v_mul_f64_e32 v[98:99], s[18:19], v[98:99]
	;; [unrolled: 1-line block ×5, first 2 shown]
	v_add_f64_e32 v[184:185], v[45:46], v[184:185]
	v_add_f64_e32 v[188:189], v[45:46], v[188:189]
	;; [unrolled: 1-line block ×6, first 2 shown]
	v_mul_f64_e32 v[178:179], s[30:31], v[106:107]
	v_mul_f64_e32 v[170:171], s[40:41], v[106:107]
	;; [unrolled: 1-line block ×3, first 2 shown]
	v_lshlrev_b64_e32 v[62:63], 4, v[49:50]
	v_add_nc_u32_e32 v49, s4, v49
	v_add_f64_e32 v[7:8], v[7:8], v[27:28]
	v_add_f64_e32 v[13:14], v[17:18], v[13:14]
	;; [unrolled: 1-line block ×5, first 2 shown]
	v_fma_f64 v[17:18], v[37:38], s[28:29], v[130:131]
	v_fma_f64 v[130:131], v[37:38], s[46:47], v[138:139]
	;; [unrolled: 1-line block ×5, first 2 shown]
	v_add_f64_e32 v[37:38], v[45:46], v[180:181]
	v_add_f64_e32 v[180:181], v[47:48], v[182:183]
	;; [unrolled: 1-line block ×4, first 2 shown]
	v_fma_f64 v[27:28], v[82:83], s[8:9], v[148:149]
	v_fma_f64 v[148:149], v[82:83], s[8:9], -v[148:149]
	v_fma_f64 v[182:183], v[82:83], s[30:31], v[35:36]
	v_fma_f64 v[35:36], v[82:83], s[30:31], -v[35:36]
	v_add_f64_e32 v[82:83], v[45:46], v[108:109]
	v_fma_f64 v[108:109], v[84:85], s[42:43], v[43:44]
	v_fma_f64 v[43:44], v[84:85], s[20:21], v[43:44]
	;; [unrolled: 1-line block ×5, first 2 shown]
	v_add_f64_e32 v[186:187], v[206:207], v[186:187]
	v_add_f64_e32 v[80:81], v[80:81], v[190:191]
	v_fma_f64 v[142:143], v[84:85], s[36:37], v[142:143]
	v_add_f64_e32 v[184:185], v[204:205], v[184:185]
	v_add_f64_e32 v[188:189], v[210:211], v[188:189]
	;; [unrolled: 1-line block ×3, first 2 shown]
	v_lshlrev_b64_e32 v[66:67], 4, v[49:50]
	v_add_f64_e32 v[11:12], v[31:32], v[11:12]
	v_add_nc_u32_e32 v49, s4, v49
	s_delay_alu instid0(VALU_DEP_1)
	v_lshlrev_b64_e32 v[70:71], 4, v[49:50]
	v_add_f64_e32 v[7:8], v[7:8], v[29:30]
	v_add_f64_e32 v[9:10], v[13:14], v[9:10]
	;; [unrolled: 1-line block ×5, first 2 shown]
	v_fma_f64 v[13:14], v[84:85], s[34:35], v[150:151]
	v_fma_f64 v[29:30], v[84:85], s[6:7], v[150:151]
	;; [unrolled: 1-line block ×3, first 2 shown]
	v_add_f64_e32 v[146:147], v[146:147], v[194:195]
	v_fma_f64 v[57:58], v[84:85], s[28:29], v[57:58]
	v_add_f64_e32 v[15:16], v[33:34], v[15:16]
	v_add_f64_e32 v[78:79], v[78:79], v[180:181]
	;; [unrolled: 1-line block ×10, first 2 shown]
	v_fma_f64 v[124:125], v[88:89], s[26:27], v[154:155]
	v_fma_f64 v[114:115], v[92:93], s[20:21], v[162:163]
	;; [unrolled: 1-line block ×4, first 2 shown]
	v_mul_f64_e32 v[84:85], s[36:37], v[104:105]
	v_mul_f64_e32 v[76:77], s[18:19], v[106:107]
	v_fma_f64 v[180:181], v[88:89], s[30:31], v[152:153]
	v_fma_f64 v[152:153], v[88:89], s[30:31], -v[152:153]
	v_fma_f64 v[154:155], v[88:89], s[26:27], -v[154:155]
	;; [unrolled: 1-line block ×3, first 2 shown]
	v_fma_f64 v[198:199], v[88:89], s[40:41], v[158:159]
	v_fma_f64 v[158:159], v[88:89], s[40:41], -v[158:159]
	v_fma_f64 v[130:131], v[92:93], s[46:47], v[166:167]
	v_add_f64_e32 v[27:28], v[27:28], v[188:189]
	v_mul_f64_e32 v[104:105], s[20:21], v[104:105]
	v_mul_f64_e32 v[106:107], s[26:27], v[106:107]
	v_fma_f64 v[138:139], v[92:93], s[14:15], v[98:99]
	v_fma_f64 v[118:119], v[92:93], s[42:43], v[162:163]
	v_add_f64_e32 v[7:8], v[7:8], v[25:26]
	v_add_f64_e32 v[9:10], v[9:10], v[19:20]
	;; [unrolled: 1-line block ×5, first 2 shown]
	v_fma_f64 v[19:20], v[88:89], s[18:19], v[86:87]
	v_fma_f64 v[25:26], v[88:89], s[18:19], -v[86:87]
	v_fma_f64 v[86:87], v[92:93], s[44:45], v[160:161]
	v_add_f64_e32 v[59:60], v[208:209], v[184:185]
	v_fma_f64 v[88:89], v[92:93], s[28:29], v[160:161]
	v_add_f64_e32 v[13:14], v[13:14], v[80:81]
	v_add_f64_e32 v[78:79], v[108:109], v[78:79]
	;; [unrolled: 1-line block ×5, first 2 shown]
	v_fma_f64 v[122:123], v[92:93], s[6:7], v[164:165]
	v_fma_f64 v[136:137], v[92:93], s[38:39], v[166:167]
	v_fma_f64 v[92:93], v[92:93], s[36:37], v[98:99]
	v_add_f64_e32 v[112:113], v[140:141], v[112:113]
	v_add_f64_e32 v[11:12], v[35:36], v[11:12]
	;; [unrolled: 1-line block ×10, first 2 shown]
	v_fma_f64 v[33:34], v[102:103], s[6:7], v[174:175]
	v_fma_f64 v[35:36], v[100:101], s[30:31], v[176:177]
	v_fma_f64 v[47:48], v[102:103], s[44:45], v[178:179]
	v_fma_f64 v[162:163], v[102:103], s[38:39], v[170:171]
	v_fma_f64 v[57:58], v[100:101], s[18:19], v[84:85]
	v_add_f64_e32 v[27:28], v[198:199], v[27:28]
	v_fma_f64 v[98:99], v[100:101], s[40:41], v[168:169]
	v_fma_f64 v[144:145], v[102:103], s[46:47], v[170:171]
	v_fma_f64 v[160:161], v[100:101], s[40:41], -v[168:169]
	v_fma_f64 v[128:129], v[100:101], s[8:9], -v[172:173]
	v_add_f64_e32 v[7:8], v[7:8], v[21:22]
	v_add_f64_e32 v[9:10], v[9:10], v[72:73]
	v_fma_f64 v[21:22], v[100:101], s[8:9], v[172:173]
	v_add_f64_e32 v[43:44], v[124:125], v[43:44]
	v_add_f64_e32 v[45:46], v[114:115], v[45:46]
	v_fma_f64 v[72:73], v[102:103], s[14:15], v[76:77]
	v_fma_f64 v[132:133], v[100:101], s[30:31], -v[176:177]
	v_fma_f64 v[84:85], v[100:101], s[18:19], -v[84:85]
	v_add_f64_e32 v[59:60], v[126:127], v[59:60]
	v_add_f64_e32 v[23:24], v[88:89], v[23:24]
	;; [unrolled: 1-line block ×5, first 2 shown]
	v_fma_f64 v[134:135], v[100:101], s[26:27], v[104:105]
	v_fma_f64 v[100:101], v[100:101], s[26:27], -v[104:105]
	v_fma_f64 v[104:105], v[102:103], s[34:35], v[174:175]
	v_fma_f64 v[140:141], v[102:103], s[28:29], v[178:179]
	;; [unrolled: 1-line block ×5, first 2 shown]
	v_add_f64_e32 v[80:81], v[19:20], v[80:81]
	v_add_f64_e32 v[106:107], v[138:139], v[110:111]
	;; [unrolled: 1-line block ×12, first 2 shown]
	v_add_nc_u32_e32 v49, s4, v49
	s_delay_alu instid0(VALU_DEP_1)
	v_lshlrev_b64_e32 v[74:75], 4, v[49:50]
	v_add_f64_e32 v[120:121], v[7:8], v[5:6]
	v_add_f64_e32 v[64:65], v[9:10], v[64:65]
	s_wait_alu 0xfffe
	v_add_co_u32 v5, s0, s0, v55
	s_wait_alu 0xf1ff
	v_add_co_ci_u32_e64 v6, s0, s1, v56, s0
	v_add_f64_e32 v[15:16], v[21:22], v[43:44]
	s_delay_alu instid0(VALU_DEP_3)
	v_add_co_u32 v124, s0, v5, v39
	v_add_f64_e32 v[17:18], v[33:34], v[45:46]
	v_add_f64_e32 v[19:20], v[35:36], v[59:60]
	s_wait_alu 0xf1ff
	v_add_co_ci_u32_e64 v125, s0, v6, v40, s0
	v_add_f64_e32 v[21:22], v[47:48], v[86:87]
	v_add_f64_e32 v[13:14], v[162:163], v[23:24]
	;; [unrolled: 1-line block ×4, first 2 shown]
	v_add_co_u32 v126, s0, v5, v41
	s_wait_alu 0xf1ff
	v_add_co_ci_u32_e64 v127, s0, v6, v42, s0
	v_add_f64_e32 v[27:28], v[134:135], v[80:81]
	v_add_f64_e32 v[29:30], v[142:143], v[106:107]
	;; [unrolled: 1-line block ×13, first 2 shown]
	v_add_co_u32 v47, s0, v5, v1
	s_wait_alu 0xf1ff
	v_add_co_ci_u32_e64 v48, s0, v6, v2, s0
	v_add_f64_e32 v[52:53], v[120:121], v[53:54]
	v_add_f64_e32 v[54:55], v[64:65], v[3:4]
	v_add_co_u32 v56, s0, v5, v90
	s_wait_alu 0xf1ff
	v_add_co_ci_u32_e64 v57, s0, v6, v91, s0
	v_add_co_u32 v58, s0, v5, v94
	ds_store_b128 v51, v[15:18] offset:352
	ds_store_b128 v51, v[19:22] offset:528
	;; [unrolled: 1-line block ×10, first 2 shown]
	ds_store_b128 v51, v[52:55]
	global_wb scope:SCOPE_SE
	s_wait_dscnt 0x0
	s_barrier_signal -1
	s_barrier_wait -1
	global_inv scope:SCOPE_SE
	ds_load_b128 v[1:4], v0
	ds_load_b128 v[7:10], v0 offset:176
	ds_load_b128 v[11:14], v0 offset:352
	;; [unrolled: 1-line block ×10, first 2 shown]
	s_wait_alu 0xf1ff
	v_add_co_ci_u32_e64 v59, s0, v6, v95, s0
	v_add_co_u32 v60, s0, v5, v96
	s_wait_alu 0xf1ff
	v_add_co_ci_u32_e64 v61, s0, v6, v97, s0
	v_add_co_u32 v62, s0, v5, v62
	v_add_nc_u32_e32 v49, s4, v49
	s_wait_alu 0xf1ff
	v_add_co_ci_u32_e64 v63, s0, v6, v63, s0
	v_add_co_u32 v64, s0, v5, v66
	s_wait_alu 0xf1ff
	v_add_co_ci_u32_e64 v65, s0, v6, v67, s0
	v_lshlrev_b64_e32 v[122:123], 4, v[49:50]
	v_add_co_u32 v51, s0, v5, v70
	s_wait_alu 0xf1ff
	v_add_co_ci_u32_e64 v52, s0, v6, v71, s0
	v_add_co_u32 v53, s0, v5, v74
	s_wait_alu 0xf1ff
	v_add_co_ci_u32_e64 v54, s0, v6, v75, s0
	;; [unrolled: 3-line block ×3, first 2 shown]
	s_wait_dscnt 0xa
	global_store_b128 v[124:125], v[1:4], off
	s_wait_dscnt 0x9
	global_store_b128 v[126:127], v[7:10], off
	;; [unrolled: 2-line block ×11, first 2 shown]
	s_and_saveexec_b32 s0, vcc_lo
	s_cbranch_execz .LBB0_2
; %bb.1:
	ds_load_b128 v[0:3], v0 offset:1936
	v_add_nc_u32_e32 v49, s4, v49
	s_delay_alu instid0(VALU_DEP_1) | instskip(NEXT) | instid1(VALU_DEP_1)
	v_lshlrev_b64_e32 v[7:8], 4, v[49:50]
	v_add_co_u32 v4, vcc_lo, v5, v7
	s_wait_alu 0xfffd
	s_delay_alu instid0(VALU_DEP_2)
	v_add_co_ci_u32_e32 v5, vcc_lo, v6, v8, vcc_lo
	s_wait_dscnt 0x0
	global_store_b128 v[4:5], v[0:3], off
.LBB0_2:
	s_nop 0
	s_sendmsg sendmsg(MSG_DEALLOC_VGPRS)
	s_endpgm
	.section	.rodata,"a",@progbits
	.p2align	6, 0x0
	.amdhsa_kernel fft_rtc_back_len121_factors_11_11_wgs_121_tpt_11_dp_op_CI_CI_sbrc_erc_z_xy_aligned_dirReg
		.amdhsa_group_segment_fixed_size 0
		.amdhsa_private_segment_fixed_size 0
		.amdhsa_kernarg_size 104
		.amdhsa_user_sgpr_count 2
		.amdhsa_user_sgpr_dispatch_ptr 0
		.amdhsa_user_sgpr_queue_ptr 0
		.amdhsa_user_sgpr_kernarg_segment_ptr 1
		.amdhsa_user_sgpr_dispatch_id 0
		.amdhsa_user_sgpr_private_segment_size 0
		.amdhsa_wavefront_size32 1
		.amdhsa_uses_dynamic_stack 0
		.amdhsa_enable_private_segment 0
		.amdhsa_system_sgpr_workgroup_id_x 1
		.amdhsa_system_sgpr_workgroup_id_y 0
		.amdhsa_system_sgpr_workgroup_id_z 0
		.amdhsa_system_sgpr_workgroup_info 0
		.amdhsa_system_vgpr_workitem_id 0
		.amdhsa_next_free_vgpr 214
		.amdhsa_next_free_sgpr 48
		.amdhsa_reserve_vcc 1
		.amdhsa_float_round_mode_32 0
		.amdhsa_float_round_mode_16_64 0
		.amdhsa_float_denorm_mode_32 3
		.amdhsa_float_denorm_mode_16_64 3
		.amdhsa_fp16_overflow 0
		.amdhsa_workgroup_processor_mode 1
		.amdhsa_memory_ordered 1
		.amdhsa_forward_progress 0
		.amdhsa_round_robin_scheduling 0
		.amdhsa_exception_fp_ieee_invalid_op 0
		.amdhsa_exception_fp_denorm_src 0
		.amdhsa_exception_fp_ieee_div_zero 0
		.amdhsa_exception_fp_ieee_overflow 0
		.amdhsa_exception_fp_ieee_underflow 0
		.amdhsa_exception_fp_ieee_inexact 0
		.amdhsa_exception_int_div_zero 0
	.end_amdhsa_kernel
	.text
.Lfunc_end0:
	.size	fft_rtc_back_len121_factors_11_11_wgs_121_tpt_11_dp_op_CI_CI_sbrc_erc_z_xy_aligned_dirReg, .Lfunc_end0-fft_rtc_back_len121_factors_11_11_wgs_121_tpt_11_dp_op_CI_CI_sbrc_erc_z_xy_aligned_dirReg
                                        ; -- End function
	.section	.AMDGPU.csdata,"",@progbits
; Kernel info:
; codeLenInByte = 6484
; NumSgprs: 50
; NumVgprs: 214
; ScratchSize: 0
; MemoryBound: 0
; FloatMode: 240
; IeeeMode: 1
; LDSByteSize: 0 bytes/workgroup (compile time only)
; SGPRBlocks: 6
; VGPRBlocks: 26
; NumSGPRsForWavesPerEU: 50
; NumVGPRsForWavesPerEU: 214
; Occupancy: 7
; WaveLimiterHint : 1
; COMPUTE_PGM_RSRC2:SCRATCH_EN: 0
; COMPUTE_PGM_RSRC2:USER_SGPR: 2
; COMPUTE_PGM_RSRC2:TRAP_HANDLER: 0
; COMPUTE_PGM_RSRC2:TGID_X_EN: 1
; COMPUTE_PGM_RSRC2:TGID_Y_EN: 0
; COMPUTE_PGM_RSRC2:TGID_Z_EN: 0
; COMPUTE_PGM_RSRC2:TIDIG_COMP_CNT: 0
	.text
	.p2alignl 7, 3214868480
	.fill 96, 4, 3214868480
	.type	__hip_cuid_7c6965bbea69b002,@object ; @__hip_cuid_7c6965bbea69b002
	.section	.bss,"aw",@nobits
	.globl	__hip_cuid_7c6965bbea69b002
__hip_cuid_7c6965bbea69b002:
	.byte	0                               ; 0x0
	.size	__hip_cuid_7c6965bbea69b002, 1

	.ident	"AMD clang version 19.0.0git (https://github.com/RadeonOpenCompute/llvm-project roc-6.4.0 25133 c7fe45cf4b819c5991fe208aaa96edf142730f1d)"
	.section	".note.GNU-stack","",@progbits
	.addrsig
	.addrsig_sym __hip_cuid_7c6965bbea69b002
	.amdgpu_metadata
---
amdhsa.kernels:
  - .args:
      - .actual_access:  read_only
        .address_space:  global
        .offset:         0
        .size:           8
        .value_kind:     global_buffer
      - .offset:         8
        .size:           8
        .value_kind:     by_value
      - .actual_access:  read_only
        .address_space:  global
        .offset:         16
        .size:           8
        .value_kind:     global_buffer
      - .actual_access:  read_only
        .address_space:  global
        .offset:         24
        .size:           8
        .value_kind:     global_buffer
      - .actual_access:  read_only
        .address_space:  global
        .offset:         32
        .size:           8
        .value_kind:     global_buffer
      - .offset:         40
        .size:           8
        .value_kind:     by_value
      - .actual_access:  read_only
        .address_space:  global
        .offset:         48
        .size:           8
        .value_kind:     global_buffer
      - .actual_access:  read_only
        .address_space:  global
        .offset:         56
        .size:           8
        .value_kind:     global_buffer
      - .offset:         64
        .size:           4
        .value_kind:     by_value
      - .actual_access:  read_only
        .address_space:  global
        .offset:         72
        .size:           8
        .value_kind:     global_buffer
      - .actual_access:  read_only
        .address_space:  global
        .offset:         80
        .size:           8
        .value_kind:     global_buffer
      - .actual_access:  read_only
        .address_space:  global
        .offset:         88
        .size:           8
        .value_kind:     global_buffer
      - .actual_access:  write_only
        .address_space:  global
        .offset:         96
        .size:           8
        .value_kind:     global_buffer
    .group_segment_fixed_size: 0
    .kernarg_segment_align: 8
    .kernarg_segment_size: 104
    .language:       OpenCL C
    .language_version:
      - 2
      - 0
    .max_flat_workgroup_size: 121
    .name:           fft_rtc_back_len121_factors_11_11_wgs_121_tpt_11_dp_op_CI_CI_sbrc_erc_z_xy_aligned_dirReg
    .private_segment_fixed_size: 0
    .sgpr_count:     50
    .sgpr_spill_count: 0
    .symbol:         fft_rtc_back_len121_factors_11_11_wgs_121_tpt_11_dp_op_CI_CI_sbrc_erc_z_xy_aligned_dirReg.kd
    .uniform_work_group_size: 1
    .uses_dynamic_stack: false
    .vgpr_count:     214
    .vgpr_spill_count: 0
    .wavefront_size: 32
    .workgroup_processor_mode: 1
amdhsa.target:   amdgcn-amd-amdhsa--gfx1201
amdhsa.version:
  - 1
  - 2
...

	.end_amdgpu_metadata
